;; amdgpu-corpus repo=zjin-lcf/HeCBench kind=compiled arch=gfx906 opt=O3
	.amdgcn_target "amdgcn-amd-amdhsa--gfx906"
	.amdhsa_code_object_version 6
	.text
	.protected	_Z17chemicalPotentialPA256_A256_KdPA256_A256_dddddddd ; -- Begin function _Z17chemicalPotentialPA256_A256_KdPA256_A256_dddddddd
	.globl	_Z17chemicalPotentialPA256_A256_KdPA256_A256_dddddddd
	.p2align	8
	.type	_Z17chemicalPotentialPA256_A256_KdPA256_A256_dddddddd,@function
_Z17chemicalPotentialPA256_A256_KdPA256_A256_dddddddd: ; @_Z17chemicalPotentialPA256_A256_KdPA256_A256_dddddddd
; %bb.0:
	s_load_dwordx2 s[0:1], s[4:5], 0x54
	s_waitcnt lgkmcnt(0)
	s_and_b32 s1, s1, 0xffff
	s_lshr_b32 s2, s0, 16
	s_and_b32 s0, s0, 0xffff
	s_mul_i32 s6, s6, s0
	s_mul_i32 s7, s7, s2
	;; [unrolled: 1-line block ×3, first 2 shown]
	v_add_u32_e32 v12, s6, v0
	v_add_u32_e32 v16, s7, v1
	v_add_u32_e32 v10, s8, v2
	v_or3_b32 v0, v16, v12, v10
	s_movk_i32 s0, 0x100
	v_cmp_gt_u32_e32 vcc, s0, v0
	s_and_saveexec_b64 s[0:1], vcc
	s_cbranch_execz .LBB0_2
; %bb.1:
	s_load_dwordx16 s[8:23], s[4:5], 0x0
	s_load_dwordx2 s[0:1], s[4:5], 0x40
	v_mov_b32_e32 v11, 0
	v_lshlrev_b64 v[0:1], 19, v[10:11]
	v_mov_b32_e32 v17, v11
	s_waitcnt lgkmcnt(0)
	v_add_co_u32_e32 v19, vcc, s8, v0
	v_mov_b32_e32 v2, s9
	v_addc_co_u32_e32 v20, vcc, v2, v1, vcc
	v_lshlrev_b64 v[2:3], 11, v[16:17]
	v_mov_b32_e32 v13, v11
	v_add_co_u32_e32 v17, vcc, v19, v2
	v_lshlrev_b64 v[4:5], 3, v[12:13]
	v_addc_co_u32_e32 v21, vcc, v20, v3, vcc
	v_add_co_u32_e32 v6, vcc, v17, v4
	v_addc_co_u32_e32 v7, vcc, v21, v5, vcc
	global_load_dwordx2 v[8:9], v[6:7], off
	s_movk_i32 s4, 0xff
	v_mov_b32_e32 v23, 0xff
	v_subrev_co_u32_e64 v18, s[2:3], 1, v10
	s_waitcnt vmcnt(0)
	v_add_f64 v[13:14], v[8:9], -1.0
	v_add_f64 v[6:7], v[8:9], 1.0
	v_mul_f64 v[13:14], s[22:23], v[13:14]
	v_fma_f64 v[6:7], s[20:21], v[6:7], v[13:14]
	v_add_f64 v[13:14], v[8:9], v[8:9]
	v_fma_f64 v[6:7], -s[0:1], v[13:14], v[6:7]
	s_mov_b32 s0, 0
	s_mov_b32 s1, 0x40120000
	v_mul_f64 v[13:14], v[8:9], v[8:9]
	v_mul_f64 v[6:7], v[6:7], s[0:1]
	s_mov_b32 s0, 0
	s_mov_b32 s1, 0x40080000
	v_fma_f64 v[6:7], v[8:9], s[0:1], v[6:7]
	v_fma_f64 v[6:7], v[8:9], v[13:14], v[6:7]
	v_subrev_co_u32_e32 v13, vcc, 1, v12
	v_subrev_co_u32_e64 v14, s[0:1], 1, v16
	v_cndmask_b32_e32 v22, v13, v23, vcc
	v_add_u32_e32 v13, 1, v10
	v_cmp_ne_u32_e32 vcc, s4, v10
	v_cndmask_b32_e64 v15, v14, v23, s[0:1]
	v_cndmask_b32_e64 v14, v18, v23, s[2:3]
	v_cndmask_b32_e32 v18, 0, v13, vcc
	v_add_u32_e32 v10, 1, v16
	v_cmp_ne_u32_e32 vcc, s4, v16
	v_cndmask_b32_e32 v16, 0, v10, vcc
	v_add_u32_e32 v10, 1, v12
	v_cmp_ne_u32_e32 vcc, s4, v12
	v_cndmask_b32_e32 v10, 0, v10, vcc
	v_lshlrev_b64 v[12:13], 3, v[10:11]
	v_mov_b32_e32 v23, v11
	v_add_co_u32_e32 v12, vcc, v17, v12
	v_lshlrev_b64 v[22:23], 3, v[22:23]
	v_addc_co_u32_e32 v13, vcc, v21, v13, vcc
	v_add_co_u32_e32 v22, vcc, v17, v22
	v_addc_co_u32_e32 v23, vcc, v21, v23, vcc
	global_load_dwordx2 v[12:13], v[12:13], off
	v_mov_b32_e32 v17, v11
	global_load_dwordx2 v[21:22], v[22:23], off
	v_lshlrev_b64 v[16:17], 11, v[16:17]
	s_waitcnt vmcnt(0)
	v_add_f64 v[12:13], v[12:13], v[21:22]
	v_mul_f64 v[21:22], s[12:13], s[12:13]
	v_fma_f64 v[12:13], v[8:9], -2.0, v[12:13]
	v_div_scale_f64 v[23:24], s[0:1], v[21:22], v[21:22], v[12:13]
	v_rcp_f64_e32 v[25:26], v[23:24]
	v_fma_f64 v[27:28], -v[23:24], v[25:26], 1.0
	v_fma_f64 v[25:26], v[25:26], v[27:28], v[25:26]
	v_fma_f64 v[27:28], -v[23:24], v[25:26], 1.0
	v_fma_f64 v[25:26], v[25:26], v[27:28], v[25:26]
	v_div_scale_f64 v[27:28], vcc, v[12:13], v[21:22], v[12:13]
	v_mul_f64 v[29:30], v[27:28], v[25:26]
	v_fma_f64 v[23:24], -v[23:24], v[29:30], v[27:28]
	s_nop 1
	v_div_fmas_f64 v[23:24], v[23:24], v[25:26], v[29:30]
	v_add_co_u32_e32 v10, vcc, v19, v16
	v_addc_co_u32_e32 v17, vcc, v20, v17, vcc
	v_add_co_u32_e32 v16, vcc, v10, v4
	v_addc_co_u32_e32 v17, vcc, v17, v5, vcc
	v_div_fixup_f64 v[12:13], v[23:24], v[21:22], v[12:13]
	global_load_dwordx2 v[21:22], v[16:17], off
	v_mov_b32_e32 v16, v11
	v_lshlrev_b64 v[15:16], 11, v[15:16]
	v_add_co_u32_e32 v10, vcc, v19, v15
	v_addc_co_u32_e32 v16, vcc, v20, v16, vcc
	v_add_co_u32_e32 v15, vcc, v10, v4
	v_addc_co_u32_e32 v16, vcc, v16, v5, vcc
	global_load_dwordx2 v[15:16], v[15:16], off
	v_mul_f64 v[19:20], s[14:15], s[14:15]
	s_waitcnt vmcnt(0)
	v_add_f64 v[15:16], v[21:22], v[15:16]
	v_fma_f64 v[15:16], v[8:9], -2.0, v[15:16]
	v_div_scale_f64 v[21:22], s[0:1], v[19:20], v[19:20], v[15:16]
	v_rcp_f64_e32 v[23:24], v[21:22]
	v_fma_f64 v[25:26], -v[21:22], v[23:24], 1.0
	v_fma_f64 v[23:24], v[23:24], v[25:26], v[23:24]
	v_fma_f64 v[25:26], -v[21:22], v[23:24], 1.0
	v_fma_f64 v[23:24], v[23:24], v[25:26], v[23:24]
	v_div_scale_f64 v[25:26], vcc, v[15:16], v[19:20], v[15:16]
	v_mul_f64 v[27:28], v[25:26], v[23:24]
	v_fma_f64 v[21:22], -v[21:22], v[27:28], v[25:26]
	s_nop 1
	v_div_fmas_f64 v[21:22], v[21:22], v[23:24], v[27:28]
	v_div_fixup_f64 v[16:17], v[21:22], v[19:20], v[15:16]
	v_mov_b32_e32 v19, v11
	v_lshlrev_b64 v[18:19], 19, v[18:19]
	v_mov_b32_e32 v15, s9
	v_add_co_u32_e32 v10, vcc, s8, v18
	v_addc_co_u32_e32 v15, vcc, v15, v19, vcc
	v_add_co_u32_e32 v10, vcc, v10, v2
	v_addc_co_u32_e32 v15, vcc, v15, v3, vcc
	;; [unrolled: 2-line block ×3, first 2 shown]
	v_mov_b32_e32 v15, v11
	v_lshlrev_b64 v[10:11], 19, v[14:15]
	v_mov_b32_e32 v14, s9
	v_add_co_u32_e32 v10, vcc, s8, v10
	v_addc_co_u32_e32 v11, vcc, v14, v11, vcc
	v_add_co_u32_e32 v10, vcc, v10, v2
	v_addc_co_u32_e32 v11, vcc, v11, v3, vcc
	;; [unrolled: 2-line block ×3, first 2 shown]
	global_load_dwordx2 v[18:19], v[18:19], off
	s_nop 0
	global_load_dwordx2 v[10:11], v[10:11], off
	s_waitcnt vmcnt(0)
	v_add_f64 v[10:11], v[18:19], v[10:11]
	v_fma_f64 v[8:9], v[8:9], -2.0, v[10:11]
	v_mul_f64 v[10:11], s[16:17], s[16:17]
	v_div_scale_f64 v[14:15], s[0:1], v[10:11], v[10:11], v[8:9]
	v_rcp_f64_e32 v[18:19], v[14:15]
	v_fma_f64 v[20:21], -v[14:15], v[18:19], 1.0
	v_fma_f64 v[18:19], v[18:19], v[20:21], v[18:19]
	v_fma_f64 v[20:21], -v[14:15], v[18:19], 1.0
	v_fma_f64 v[18:19], v[18:19], v[20:21], v[18:19]
	v_div_scale_f64 v[20:21], vcc, v[8:9], v[10:11], v[8:9]
	v_mul_f64 v[22:23], v[20:21], v[18:19]
	v_fma_f64 v[14:15], -v[14:15], v[22:23], v[20:21]
	s_nop 1
	v_div_fmas_f64 v[14:15], v[14:15], v[18:19], v[22:23]
	v_add_co_u32_e32 v0, vcc, s10, v0
	v_div_fixup_f64 v[8:9], v[14:15], v[10:11], v[8:9]
	v_add_f64 v[10:11], v[12:13], v[16:17]
	v_add_f64 v[8:9], v[10:11], v[8:9]
	v_fma_f64 v[6:7], -s[18:19], v[8:9], v[6:7]
	v_mov_b32_e32 v8, s11
	v_addc_co_u32_e32 v1, vcc, v8, v1, vcc
	v_add_co_u32_e32 v0, vcc, v0, v2
	v_addc_co_u32_e32 v1, vcc, v1, v3, vcc
	v_add_co_u32_e32 v0, vcc, v0, v4
	v_addc_co_u32_e32 v1, vcc, v1, v5, vcc
	global_store_dwordx2 v[0:1], v[6:7], off
.LBB0_2:
	s_endpgm
	.section	.rodata,"a",@progbits
	.p2align	6, 0x0
	.amdhsa_kernel _Z17chemicalPotentialPA256_A256_KdPA256_A256_dddddddd
		.amdhsa_group_segment_fixed_size 0
		.amdhsa_private_segment_fixed_size 0
		.amdhsa_kernarg_size 328
		.amdhsa_user_sgpr_count 6
		.amdhsa_user_sgpr_private_segment_buffer 1
		.amdhsa_user_sgpr_dispatch_ptr 0
		.amdhsa_user_sgpr_queue_ptr 0
		.amdhsa_user_sgpr_kernarg_segment_ptr 1
		.amdhsa_user_sgpr_dispatch_id 0
		.amdhsa_user_sgpr_flat_scratch_init 0
		.amdhsa_user_sgpr_private_segment_size 0
		.amdhsa_uses_dynamic_stack 0
		.amdhsa_system_sgpr_private_segment_wavefront_offset 0
		.amdhsa_system_sgpr_workgroup_id_x 1
		.amdhsa_system_sgpr_workgroup_id_y 1
		.amdhsa_system_sgpr_workgroup_id_z 1
		.amdhsa_system_sgpr_workgroup_info 0
		.amdhsa_system_vgpr_workitem_id 2
		.amdhsa_next_free_vgpr 31
		.amdhsa_next_free_sgpr 24
		.amdhsa_reserve_vcc 1
		.amdhsa_reserve_flat_scratch 0
		.amdhsa_float_round_mode_32 0
		.amdhsa_float_round_mode_16_64 0
		.amdhsa_float_denorm_mode_32 3
		.amdhsa_float_denorm_mode_16_64 3
		.amdhsa_dx10_clamp 1
		.amdhsa_ieee_mode 1
		.amdhsa_fp16_overflow 0
		.amdhsa_exception_fp_ieee_invalid_op 0
		.amdhsa_exception_fp_denorm_src 0
		.amdhsa_exception_fp_ieee_div_zero 0
		.amdhsa_exception_fp_ieee_overflow 0
		.amdhsa_exception_fp_ieee_underflow 0
		.amdhsa_exception_fp_ieee_inexact 0
		.amdhsa_exception_int_div_zero 0
	.end_amdhsa_kernel
	.text
.Lfunc_end0:
	.size	_Z17chemicalPotentialPA256_A256_KdPA256_A256_dddddddd, .Lfunc_end0-_Z17chemicalPotentialPA256_A256_KdPA256_A256_dddddddd
                                        ; -- End function
	.set _Z17chemicalPotentialPA256_A256_KdPA256_A256_dddddddd.num_vgpr, 31
	.set _Z17chemicalPotentialPA256_A256_KdPA256_A256_dddddddd.num_agpr, 0
	.set _Z17chemicalPotentialPA256_A256_KdPA256_A256_dddddddd.numbered_sgpr, 24
	.set _Z17chemicalPotentialPA256_A256_KdPA256_A256_dddddddd.num_named_barrier, 0
	.set _Z17chemicalPotentialPA256_A256_KdPA256_A256_dddddddd.private_seg_size, 0
	.set _Z17chemicalPotentialPA256_A256_KdPA256_A256_dddddddd.uses_vcc, 1
	.set _Z17chemicalPotentialPA256_A256_KdPA256_A256_dddddddd.uses_flat_scratch, 0
	.set _Z17chemicalPotentialPA256_A256_KdPA256_A256_dddddddd.has_dyn_sized_stack, 0
	.set _Z17chemicalPotentialPA256_A256_KdPA256_A256_dddddddd.has_recursion, 0
	.set _Z17chemicalPotentialPA256_A256_KdPA256_A256_dddddddd.has_indirect_call, 0
	.section	.AMDGPU.csdata,"",@progbits
; Kernel info:
; codeLenInByte = 1004
; TotalNumSgprs: 28
; NumVgprs: 31
; ScratchSize: 0
; MemoryBound: 0
; FloatMode: 240
; IeeeMode: 1
; LDSByteSize: 0 bytes/workgroup (compile time only)
; SGPRBlocks: 3
; VGPRBlocks: 7
; NumSGPRsForWavesPerEU: 28
; NumVGPRsForWavesPerEU: 31
; Occupancy: 8
; WaveLimiterHint : 0
; COMPUTE_PGM_RSRC2:SCRATCH_EN: 0
; COMPUTE_PGM_RSRC2:USER_SGPR: 6
; COMPUTE_PGM_RSRC2:TRAP_HANDLER: 0
; COMPUTE_PGM_RSRC2:TGID_X_EN: 1
; COMPUTE_PGM_RSRC2:TGID_Y_EN: 1
; COMPUTE_PGM_RSRC2:TGID_Z_EN: 1
; COMPUTE_PGM_RSRC2:TIDIG_COMP_CNT: 2
	.text
	.protected	_Z25localFreeEnergyFunctionalPA256_A256_KdPA256_A256_dddddddd ; -- Begin function _Z25localFreeEnergyFunctionalPA256_A256_KdPA256_A256_dddddddd
	.globl	_Z25localFreeEnergyFunctionalPA256_A256_KdPA256_A256_dddddddd
	.p2align	8
	.type	_Z25localFreeEnergyFunctionalPA256_A256_KdPA256_A256_dddddddd,@function
_Z25localFreeEnergyFunctionalPA256_A256_KdPA256_A256_dddddddd: ; @_Z25localFreeEnergyFunctionalPA256_A256_KdPA256_A256_dddddddd
; %bb.0:
	s_load_dwordx2 s[0:1], s[4:5], 0x54
	s_waitcnt lgkmcnt(0)
	s_and_b32 s1, s1, 0xffff
	s_lshr_b32 s2, s0, 16
	s_and_b32 s0, s0, 0xffff
	s_mul_i32 s6, s6, s0
	s_mul_i32 s7, s7, s2
	;; [unrolled: 1-line block ×3, first 2 shown]
	v_add_u32_e32 v14, s6, v0
	v_add_u32_e32 v12, s7, v1
	;; [unrolled: 1-line block ×3, first 2 shown]
	v_or3_b32 v0, v12, v14, v10
	s_movk_i32 s0, 0x100
	v_cmp_gt_u32_e32 vcc, s0, v0
	s_and_saveexec_b64 s[0:1], vcc
	s_cbranch_execz .LBB1_2
; %bb.1:
	s_load_dwordx16 s[8:23], s[4:5], 0x0
	s_load_dwordx2 s[0:1], s[4:5], 0x40
	v_mov_b32_e32 v11, 0
	v_lshlrev_b64 v[0:1], 19, v[10:11]
	v_mov_b32_e32 v13, v11
	s_waitcnt lgkmcnt(0)
	v_add_co_u32_e32 v16, vcc, s8, v0
	v_mov_b32_e32 v2, s9
	v_addc_co_u32_e32 v17, vcc, v2, v1, vcc
	v_lshlrev_b64 v[2:3], 11, v[12:13]
	v_mov_b32_e32 v15, v11
	v_add_co_u32_e32 v13, vcc, v16, v2
	v_lshlrev_b64 v[4:5], 3, v[14:15]
	v_addc_co_u32_e32 v18, vcc, v17, v3, vcc
	v_add_co_u32_e32 v6, vcc, v13, v4
	v_addc_co_u32_e32 v7, vcc, v18, v5, vcc
	global_load_dwordx2 v[6:7], v[6:7], off
	v_mov_b32_e32 v15, 0xff
	v_mov_b32_e32 v21, v11
	s_waitcnt vmcnt(0)
	v_add_f64 v[8:9], v[6:7], v[6:7]
	v_fma_f64 v[19:20], v[6:7], v[6:7], v[8:9]
	v_fma_f64 v[8:9], v[6:7], v[6:7], -v[8:9]
	v_add_f64 v[19:20], v[19:20], 1.0
	v_add_f64 v[8:9], v[8:9], 1.0
	v_mul_f64 v[8:9], s[22:23], v[8:9]
	v_fma_f64 v[8:9], s[20:21], v[19:20], v[8:9]
	v_fma_f64 v[19:20], -v[6:7], v[6:7], 1.0
	v_add_f64 v[19:20], v[19:20], v[19:20]
	v_fma_f64 v[8:9], s[0:1], v[19:20], v[8:9]
	s_mov_b32 s0, 0
	s_mov_b32 s1, 0x40020000
	v_mul_f64 v[8:9], v[8:9], s[0:1]
	s_mov_b32 s0, 0
	s_mov_b32 s1, 0x3ff80000
	v_mul_f64 v[19:20], v[6:7], s[0:1]
	s_movk_i32 s0, 0xff
	v_fma_f64 v[8:9], v[6:7], v[19:20], v[8:9]
	v_ldexp_f64 v[19:20], v[6:7], -2
	v_mul_f64 v[19:20], v[6:7], v[19:20]
	v_mul_f64 v[19:20], v[6:7], v[19:20]
	v_fma_f64 v[6:7], v[6:7], v[19:20], v[8:9]
	v_subrev_co_u32_e32 v19, vcc, 1, v14
	v_cndmask_b32_e32 v19, v19, v15, vcc
	v_add_u32_e32 v20, 1, v14
	v_cmp_ne_u32_e32 vcc, s0, v14
	v_cndmask_b32_e32 v20, 0, v20, vcc
	v_lshlrev_b64 v[20:21], 3, v[20:21]
	v_mul_f64 v[8:9], s[18:19], 0.5
	v_add_co_u32_e32 v20, vcc, v13, v20
	v_addc_co_u32_e32 v21, vcc, v18, v21, vcc
	global_load_dwordx2 v[21:22], v[20:21], off
	v_mov_b32_e32 v20, v11
	v_lshlrev_b64 v[19:20], 3, v[19:20]
	v_add_co_u32_e32 v13, vcc, v13, v19
	v_addc_co_u32_e32 v14, vcc, v18, v20, vcc
	global_load_dwordx2 v[13:14], v[13:14], off
	v_add_f64 v[18:19], s[12:13], s[12:13]
	s_waitcnt vmcnt(0)
	v_add_f64 v[13:14], v[21:22], -v[13:14]
	v_div_scale_f64 v[20:21], s[2:3], v[18:19], v[18:19], v[13:14]
	v_rcp_f64_e32 v[22:23], v[20:21]
	v_fma_f64 v[24:25], -v[20:21], v[22:23], 1.0
	v_fma_f64 v[22:23], v[22:23], v[24:25], v[22:23]
	v_fma_f64 v[24:25], -v[20:21], v[22:23], 1.0
	v_fma_f64 v[22:23], v[22:23], v[24:25], v[22:23]
	v_div_scale_f64 v[24:25], vcc, v[13:14], v[18:19], v[13:14]
	v_mul_f64 v[26:27], v[24:25], v[22:23]
	v_fma_f64 v[20:21], -v[20:21], v[26:27], v[24:25]
	s_nop 1
	v_div_fmas_f64 v[20:21], v[20:21], v[22:23], v[26:27]
	v_div_fixup_f64 v[13:14], v[20:21], v[18:19], v[13:14]
	v_subrev_co_u32_e32 v18, vcc, 1, v12
	v_cndmask_b32_e32 v18, v18, v15, vcc
	v_add_u32_e32 v19, 1, v12
	v_cmp_ne_u32_e32 vcc, s0, v12
	v_cndmask_b32_e32 v19, 0, v19, vcc
	v_mov_b32_e32 v20, v11
	v_lshlrev_b64 v[19:20], 11, v[19:20]
	v_add_co_u32_e32 v12, vcc, v16, v19
	v_addc_co_u32_e32 v20, vcc, v17, v20, vcc
	v_add_co_u32_e32 v19, vcc, v12, v4
	v_addc_co_u32_e32 v20, vcc, v20, v5, vcc
	global_load_dwordx2 v[20:21], v[19:20], off
	v_mov_b32_e32 v19, v11
	v_lshlrev_b64 v[18:19], 11, v[18:19]
	v_add_co_u32_e32 v12, vcc, v16, v18
	v_addc_co_u32_e32 v17, vcc, v17, v19, vcc
	v_add_co_u32_e32 v16, vcc, v12, v4
	v_addc_co_u32_e32 v17, vcc, v17, v5, vcc
	global_load_dwordx2 v[16:17], v[16:17], off
	v_add_f64 v[18:19], s[14:15], s[14:15]
	s_waitcnt vmcnt(0)
	v_add_f64 v[16:17], v[20:21], -v[16:17]
	v_div_scale_f64 v[20:21], s[2:3], v[18:19], v[18:19], v[16:17]
	v_rcp_f64_e32 v[22:23], v[20:21]
	v_fma_f64 v[24:25], -v[20:21], v[22:23], 1.0
	v_fma_f64 v[22:23], v[22:23], v[24:25], v[22:23]
	v_fma_f64 v[24:25], -v[20:21], v[22:23], 1.0
	v_fma_f64 v[22:23], v[22:23], v[24:25], v[22:23]
	v_div_scale_f64 v[24:25], vcc, v[16:17], v[18:19], v[16:17]
	v_mul_f64 v[26:27], v[24:25], v[22:23]
	v_fma_f64 v[20:21], -v[20:21], v[26:27], v[24:25]
	s_nop 1
	v_div_fmas_f64 v[20:21], v[20:21], v[22:23], v[26:27]
	v_div_fixup_f64 v[16:17], v[20:21], v[18:19], v[16:17]
	v_mul_f64 v[16:17], v[16:17], v[16:17]
	v_fma_f64 v[12:13], v[13:14], v[13:14], v[16:17]
	v_subrev_co_u32_e32 v14, vcc, 1, v10
	v_cndmask_b32_e32 v14, v14, v15, vcc
	v_add_u32_e32 v15, 1, v10
	v_cmp_ne_u32_e32 vcc, s0, v10
	v_cndmask_b32_e32 v10, 0, v15, vcc
	v_lshlrev_b64 v[15:16], 19, v[10:11]
	v_add_co_u32_e32 v10, vcc, s8, v15
	v_mov_b32_e32 v15, s9
	v_addc_co_u32_e32 v15, vcc, v15, v16, vcc
	v_add_co_u32_e32 v10, vcc, v10, v2
	v_addc_co_u32_e32 v16, vcc, v15, v3, vcc
	v_add_co_u32_e32 v15, vcc, v10, v4
	v_addc_co_u32_e32 v16, vcc, v16, v5, vcc
	global_load_dwordx2 v[16:17], v[15:16], off
	v_mov_b32_e32 v15, v11
	v_lshlrev_b64 v[10:11], 19, v[14:15]
	v_mov_b32_e32 v14, s9
	v_add_co_u32_e32 v10, vcc, s8, v10
	v_addc_co_u32_e32 v11, vcc, v14, v11, vcc
	v_add_co_u32_e32 v10, vcc, v10, v2
	v_addc_co_u32_e32 v11, vcc, v11, v3, vcc
	;; [unrolled: 2-line block ×3, first 2 shown]
	global_load_dwordx2 v[10:11], v[10:11], off
	v_add_f64 v[14:15], s[16:17], s[16:17]
	s_waitcnt vmcnt(0)
	v_add_f64 v[10:11], v[16:17], -v[10:11]
	v_div_scale_f64 v[16:17], s[0:1], v[14:15], v[14:15], v[10:11]
	v_rcp_f64_e32 v[18:19], v[16:17]
	v_fma_f64 v[20:21], -v[16:17], v[18:19], 1.0
	v_fma_f64 v[18:19], v[18:19], v[20:21], v[18:19]
	v_fma_f64 v[20:21], -v[16:17], v[18:19], 1.0
	v_fma_f64 v[18:19], v[18:19], v[20:21], v[18:19]
	v_div_scale_f64 v[20:21], vcc, v[10:11], v[14:15], v[10:11]
	v_mul_f64 v[22:23], v[20:21], v[18:19]
	v_fma_f64 v[16:17], -v[16:17], v[22:23], v[20:21]
	s_nop 1
	v_div_fmas_f64 v[16:17], v[16:17], v[18:19], v[22:23]
	v_add_co_u32_e32 v0, vcc, s10, v0
	v_div_fixup_f64 v[10:11], v[16:17], v[14:15], v[10:11]
	v_fma_f64 v[10:11], v[10:11], v[10:11], v[12:13]
	v_fma_f64 v[6:7], v[8:9], v[10:11], v[6:7]
	v_mov_b32_e32 v8, s11
	v_addc_co_u32_e32 v1, vcc, v8, v1, vcc
	v_add_co_u32_e32 v0, vcc, v0, v2
	v_addc_co_u32_e32 v1, vcc, v1, v3, vcc
	v_add_co_u32_e32 v0, vcc, v0, v4
	v_addc_co_u32_e32 v1, vcc, v1, v5, vcc
	global_store_dwordx2 v[0:1], v[6:7], off
.LBB1_2:
	s_endpgm
	.section	.rodata,"a",@progbits
	.p2align	6, 0x0
	.amdhsa_kernel _Z25localFreeEnergyFunctionalPA256_A256_KdPA256_A256_dddddddd
		.amdhsa_group_segment_fixed_size 0
		.amdhsa_private_segment_fixed_size 0
		.amdhsa_kernarg_size 328
		.amdhsa_user_sgpr_count 6
		.amdhsa_user_sgpr_private_segment_buffer 1
		.amdhsa_user_sgpr_dispatch_ptr 0
		.amdhsa_user_sgpr_queue_ptr 0
		.amdhsa_user_sgpr_kernarg_segment_ptr 1
		.amdhsa_user_sgpr_dispatch_id 0
		.amdhsa_user_sgpr_flat_scratch_init 0
		.amdhsa_user_sgpr_private_segment_size 0
		.amdhsa_uses_dynamic_stack 0
		.amdhsa_system_sgpr_private_segment_wavefront_offset 0
		.amdhsa_system_sgpr_workgroup_id_x 1
		.amdhsa_system_sgpr_workgroup_id_y 1
		.amdhsa_system_sgpr_workgroup_id_z 1
		.amdhsa_system_sgpr_workgroup_info 0
		.amdhsa_system_vgpr_workitem_id 2
		.amdhsa_next_free_vgpr 28
		.amdhsa_next_free_sgpr 24
		.amdhsa_reserve_vcc 1
		.amdhsa_reserve_flat_scratch 0
		.amdhsa_float_round_mode_32 0
		.amdhsa_float_round_mode_16_64 0
		.amdhsa_float_denorm_mode_32 3
		.amdhsa_float_denorm_mode_16_64 3
		.amdhsa_dx10_clamp 1
		.amdhsa_ieee_mode 1
		.amdhsa_fp16_overflow 0
		.amdhsa_exception_fp_ieee_invalid_op 0
		.amdhsa_exception_fp_denorm_src 0
		.amdhsa_exception_fp_ieee_div_zero 0
		.amdhsa_exception_fp_ieee_overflow 0
		.amdhsa_exception_fp_ieee_underflow 0
		.amdhsa_exception_fp_ieee_inexact 0
		.amdhsa_exception_int_div_zero 0
	.end_amdhsa_kernel
	.text
.Lfunc_end1:
	.size	_Z25localFreeEnergyFunctionalPA256_A256_KdPA256_A256_dddddddd, .Lfunc_end1-_Z25localFreeEnergyFunctionalPA256_A256_KdPA256_A256_dddddddd
                                        ; -- End function
	.set _Z25localFreeEnergyFunctionalPA256_A256_KdPA256_A256_dddddddd.num_vgpr, 28
	.set _Z25localFreeEnergyFunctionalPA256_A256_KdPA256_A256_dddddddd.num_agpr, 0
	.set _Z25localFreeEnergyFunctionalPA256_A256_KdPA256_A256_dddddddd.numbered_sgpr, 24
	.set _Z25localFreeEnergyFunctionalPA256_A256_KdPA256_A256_dddddddd.num_named_barrier, 0
	.set _Z25localFreeEnergyFunctionalPA256_A256_KdPA256_A256_dddddddd.private_seg_size, 0
	.set _Z25localFreeEnergyFunctionalPA256_A256_KdPA256_A256_dddddddd.uses_vcc, 1
	.set _Z25localFreeEnergyFunctionalPA256_A256_KdPA256_A256_dddddddd.uses_flat_scratch, 0
	.set _Z25localFreeEnergyFunctionalPA256_A256_KdPA256_A256_dddddddd.has_dyn_sized_stack, 0
	.set _Z25localFreeEnergyFunctionalPA256_A256_KdPA256_A256_dddddddd.has_recursion, 0
	.set _Z25localFreeEnergyFunctionalPA256_A256_KdPA256_A256_dddddddd.has_indirect_call, 0
	.section	.AMDGPU.csdata,"",@progbits
; Kernel info:
; codeLenInByte = 1032
; TotalNumSgprs: 28
; NumVgprs: 28
; ScratchSize: 0
; MemoryBound: 0
; FloatMode: 240
; IeeeMode: 1
; LDSByteSize: 0 bytes/workgroup (compile time only)
; SGPRBlocks: 3
; VGPRBlocks: 6
; NumSGPRsForWavesPerEU: 28
; NumVGPRsForWavesPerEU: 28
; Occupancy: 9
; WaveLimiterHint : 0
; COMPUTE_PGM_RSRC2:SCRATCH_EN: 0
; COMPUTE_PGM_RSRC2:USER_SGPR: 6
; COMPUTE_PGM_RSRC2:TRAP_HANDLER: 0
; COMPUTE_PGM_RSRC2:TGID_X_EN: 1
; COMPUTE_PGM_RSRC2:TGID_Y_EN: 1
; COMPUTE_PGM_RSRC2:TGID_Z_EN: 1
; COMPUTE_PGM_RSRC2:TIDIG_COMP_CNT: 2
	.text
	.protected	_Z12cahnHilliardPA256_A256_dPA256_A256_KdS5_ddddd ; -- Begin function _Z12cahnHilliardPA256_A256_dPA256_A256_KdS5_ddddd
	.globl	_Z12cahnHilliardPA256_A256_dPA256_A256_KdS5_ddddd
	.p2align	8
	.type	_Z12cahnHilliardPA256_A256_dPA256_A256_KdS5_ddddd,@function
_Z12cahnHilliardPA256_A256_dPA256_A256_KdS5_ddddd: ; @_Z12cahnHilliardPA256_A256_dPA256_A256_KdS5_ddddd
; %bb.0:
	s_load_dwordx2 s[0:1], s[4:5], 0x4c
	s_waitcnt lgkmcnt(0)
	s_and_b32 s1, s1, 0xffff
	s_lshr_b32 s2, s0, 16
	s_and_b32 s0, s0, 0xffff
	s_mul_i32 s6, s6, s0
	s_mul_i32 s7, s7, s2
	;; [unrolled: 1-line block ×3, first 2 shown]
	v_add_u32_e32 v6, s6, v0
	v_add_u32_e32 v10, s7, v1
	;; [unrolled: 1-line block ×3, first 2 shown]
	v_or3_b32 v0, v10, v6, v4
	s_movk_i32 s0, 0x100
	v_cmp_gt_u32_e32 vcc, s0, v0
	s_and_saveexec_b64 s[0:1], vcc
	s_cbranch_execz .LBB2_2
; %bb.1:
	s_load_dwordx16 s[8:23], s[4:5], 0x0
	v_mov_b32_e32 v5, 0
	v_lshlrev_b64 v[0:1], 19, v[4:5]
	v_mov_b32_e32 v11, v5
	s_movk_i32 s4, 0xff
	v_lshlrev_b64 v[2:3], 11, v[10:11]
	v_subrev_co_u32_e64 v13, s[0:1], 1, v4
	v_add_u32_e32 v11, 1, v4
	v_cmp_ne_u32_e32 vcc, s4, v4
	v_add_u32_e32 v4, 1, v6
	v_cmp_ne_u32_e64 s[2:3], s4, v6
	v_cndmask_b32_e64 v4, 0, v4, s[2:3]
	s_waitcnt lgkmcnt(0)
	v_mov_b32_e32 v7, s13
	v_add_co_u32_e64 v14, s[2:3], s12, v0
	v_addc_co_u32_e64 v15, s[2:3], v7, v1, s[2:3]
	v_add_co_u32_e64 v9, s[2:3], v14, v2
	v_lshlrev_b64 v[7:8], 3, v[4:5]
	v_addc_co_u32_e64 v22, s[2:3], v15, v3, s[2:3]
	v_add_co_u32_e64 v7, s[2:3], v9, v7
	v_addc_co_u32_e64 v8, s[2:3], v22, v8, s[2:3]
	v_mov_b32_e32 v12, 0xff
	v_subrev_co_u32_e64 v4, s[2:3], 1, v6
	v_cndmask_b32_e64 v16, v4, v12, s[2:3]
	v_mov_b32_e32 v17, v5
	v_lshlrev_b64 v[16:17], 3, v[16:17]
	v_add_u32_e32 v4, 1, v10
	v_add_co_u32_e64 v16, s[2:3], v9, v16
	v_addc_co_u32_e64 v17, s[2:3], v22, v17, s[2:3]
	global_load_dwordx2 v[18:19], v[7:8], off
	global_load_dwordx2 v[20:21], v[16:17], off
	v_mov_b32_e32 v7, v5
	v_lshlrev_b64 v[6:7], 3, v[6:7]
	v_mov_b32_e32 v17, v5
	v_add_co_u32_e64 v8, s[2:3], v9, v6
	v_addc_co_u32_e64 v9, s[2:3], v22, v7, s[2:3]
	global_load_dwordx2 v[8:9], v[8:9], off
	v_cmp_ne_u32_e64 s[2:3], s4, v10
	v_cndmask_b32_e64 v16, 0, v4, s[2:3]
	v_subrev_co_u32_e64 v4, s[2:3], 1, v10
	v_lshlrev_b64 v[16:17], 11, v[16:17]
	v_cndmask_b32_e64 v22, v4, v12, s[2:3]
	v_mov_b32_e32 v23, v5
	v_lshlrev_b64 v[22:23], 11, v[22:23]
	v_add_co_u32_e64 v4, s[2:3], v14, v16
	v_addc_co_u32_e64 v10, s[2:3], v15, v17, s[2:3]
	v_add_co_u32_e64 v16, s[2:3], v14, v22
	v_addc_co_u32_e64 v17, s[2:3], v15, v23, s[2:3]
	;; [unrolled: 2-line block ×4, first 2 shown]
	global_load_dwordx2 v[22:23], v[14:15], off
	global_load_dwordx2 v[24:25], v[16:17], off
	v_mul_f64 v[16:17], s[18:19], s[18:19]
	v_cndmask_b32_e32 v4, 0, v11, vcc
	v_cndmask_b32_e64 v12, v13, v12, s[0:1]
	v_mov_b32_e32 v13, v5
	v_lshlrev_b64 v[4:5], 19, v[4:5]
	v_lshlrev_b64 v[10:11], 19, v[12:13]
	v_mov_b32_e32 v12, s13
	v_add_co_u32_e32 v26, vcc, s12, v4
	v_addc_co_u32_e32 v12, vcc, v12, v5, vcc
	v_mov_b32_e32 v13, s13
	v_add_co_u32_e32 v10, vcc, s12, v10
	v_addc_co_u32_e32 v11, vcc, v13, v11, vcc
	v_add_co_u32_e32 v13, vcc, v26, v2
	v_addc_co_u32_e32 v12, vcc, v12, v3, vcc
	;; [unrolled: 2-line block ×5, first 2 shown]
	s_waitcnt vmcnt(3)
	v_add_f64 v[14:15], v[18:19], v[20:21]
	s_waitcnt vmcnt(2)
	v_fma_f64 v[14:15], v[8:9], -2.0, v[14:15]
	v_div_scale_f64 v[18:19], s[2:3], v[16:17], v[16:17], v[14:15]
	v_div_scale_f64 v[26:27], vcc, v[14:15], v[16:17], v[14:15]
	v_rcp_f64_e32 v[20:21], v[18:19]
	v_fma_f64 v[4:5], -v[18:19], v[20:21], 1.0
	v_fma_f64 v[4:5], v[20:21], v[4:5], v[20:21]
	v_fma_f64 v[20:21], -v[18:19], v[4:5], 1.0
	v_fma_f64 v[4:5], v[4:5], v[20:21], v[4:5]
	global_load_dwordx2 v[20:21], v[10:11], off
	global_load_dwordx2 v[28:29], v[12:13], off
	s_waitcnt vmcnt(2)
	v_add_f64 v[10:11], v[22:23], v[24:25]
	v_mul_f64 v[22:23], s[20:21], s[20:21]
	v_mul_f64 v[12:13], v[26:27], v[4:5]
	v_fma_f64 v[10:11], v[8:9], -2.0, v[10:11]
	v_fma_f64 v[18:19], -v[18:19], v[12:13], v[26:27]
	v_div_scale_f64 v[24:25], s[0:1], v[22:23], v[22:23], v[10:11]
	v_div_fmas_f64 v[4:5], v[18:19], v[4:5], v[12:13]
	v_rcp_f64_e32 v[12:13], v[24:25]
	v_div_fixup_f64 v[4:5], v[4:5], v[16:17], v[14:15]
	v_fma_f64 v[18:19], -v[24:25], v[12:13], 1.0
	v_fma_f64 v[12:13], v[12:13], v[18:19], v[12:13]
	v_fma_f64 v[18:19], -v[24:25], v[12:13], 1.0
	v_fma_f64 v[12:13], v[12:13], v[18:19], v[12:13]
	v_div_scale_f64 v[18:19], vcc, v[10:11], v[22:23], v[10:11]
	s_waitcnt vmcnt(0)
	v_add_f64 v[20:21], v[20:21], v[28:29]
	v_fma_f64 v[8:9], v[8:9], -2.0, v[20:21]
	v_mul_f64 v[20:21], s[22:23], s[22:23]
	v_mul_f64 v[26:27], v[18:19], v[12:13]
	v_fma_f64 v[18:19], -v[24:25], v[26:27], v[18:19]
	v_div_scale_f64 v[24:25], s[0:1], v[20:21], v[20:21], v[8:9]
	v_div_fmas_f64 v[12:13], v[18:19], v[12:13], v[26:27]
	v_rcp_f64_e32 v[18:19], v[24:25]
	v_div_fixup_f64 v[10:11], v[12:13], v[22:23], v[10:11]
	v_add_f64 v[4:5], v[4:5], v[10:11]
	v_fma_f64 v[26:27], -v[24:25], v[18:19], 1.0
	v_mov_b32_e32 v10, s16
	v_mov_b32_e32 v11, s17
	v_mul_f64 v[10:11], s[14:15], v[10:11]
	v_fma_f64 v[18:19], v[18:19], v[26:27], v[18:19]
	v_fma_f64 v[26:27], -v[24:25], v[18:19], 1.0
	v_fma_f64 v[18:19], v[18:19], v[26:27], v[18:19]
	v_div_scale_f64 v[26:27], vcc, v[8:9], v[20:21], v[8:9]
	v_mul_f64 v[28:29], v[26:27], v[18:19]
	v_fma_f64 v[24:25], -v[24:25], v[28:29], v[26:27]
	s_nop 1
	v_div_fmas_f64 v[18:19], v[24:25], v[18:19], v[28:29]
	v_mov_b32_e32 v24, s11
	v_add_co_u32_e32 v25, vcc, s10, v0
	v_addc_co_u32_e32 v24, vcc, v24, v1, vcc
	v_add_co_u32_e32 v25, vcc, v25, v2
	v_addc_co_u32_e32 v26, vcc, v24, v3, vcc
	;; [unrolled: 2-line block ×3, first 2 shown]
	global_load_dwordx2 v[24:25], v[24:25], off
	v_div_fixup_f64 v[8:9], v[18:19], v[20:21], v[8:9]
	v_add_f64 v[4:5], v[4:5], v[8:9]
	v_mov_b32_e32 v8, s9
	v_add_co_u32_e32 v9, vcc, s8, v0
	v_addc_co_u32_e32 v8, vcc, v8, v1, vcc
	v_add_co_u32_e32 v2, vcc, v9, v2
	v_addc_co_u32_e32 v3, vcc, v8, v3, vcc
	v_add_co_u32_e32 v2, vcc, v2, v6
	v_addc_co_u32_e32 v3, vcc, v3, v7, vcc
	s_waitcnt vmcnt(0)
	v_fma_f64 v[0:1], v[10:11], v[4:5], v[24:25]
	global_store_dwordx2 v[2:3], v[0:1], off
.LBB2_2:
	s_endpgm
	.section	.rodata,"a",@progbits
	.p2align	6, 0x0
	.amdhsa_kernel _Z12cahnHilliardPA256_A256_dPA256_A256_KdS5_ddddd
		.amdhsa_group_segment_fixed_size 0
		.amdhsa_private_segment_fixed_size 0
		.amdhsa_kernarg_size 320
		.amdhsa_user_sgpr_count 6
		.amdhsa_user_sgpr_private_segment_buffer 1
		.amdhsa_user_sgpr_dispatch_ptr 0
		.amdhsa_user_sgpr_queue_ptr 0
		.amdhsa_user_sgpr_kernarg_segment_ptr 1
		.amdhsa_user_sgpr_dispatch_id 0
		.amdhsa_user_sgpr_flat_scratch_init 0
		.amdhsa_user_sgpr_private_segment_size 0
		.amdhsa_uses_dynamic_stack 0
		.amdhsa_system_sgpr_private_segment_wavefront_offset 0
		.amdhsa_system_sgpr_workgroup_id_x 1
		.amdhsa_system_sgpr_workgroup_id_y 1
		.amdhsa_system_sgpr_workgroup_id_z 1
		.amdhsa_system_sgpr_workgroup_info 0
		.amdhsa_system_vgpr_workitem_id 2
		.amdhsa_next_free_vgpr 30
		.amdhsa_next_free_sgpr 24
		.amdhsa_reserve_vcc 1
		.amdhsa_reserve_flat_scratch 0
		.amdhsa_float_round_mode_32 0
		.amdhsa_float_round_mode_16_64 0
		.amdhsa_float_denorm_mode_32 3
		.amdhsa_float_denorm_mode_16_64 3
		.amdhsa_dx10_clamp 1
		.amdhsa_ieee_mode 1
		.amdhsa_fp16_overflow 0
		.amdhsa_exception_fp_ieee_invalid_op 0
		.amdhsa_exception_fp_denorm_src 0
		.amdhsa_exception_fp_ieee_div_zero 0
		.amdhsa_exception_fp_ieee_overflow 0
		.amdhsa_exception_fp_ieee_underflow 0
		.amdhsa_exception_fp_ieee_inexact 0
		.amdhsa_exception_int_div_zero 0
	.end_amdhsa_kernel
	.text
.Lfunc_end2:
	.size	_Z12cahnHilliardPA256_A256_dPA256_A256_KdS5_ddddd, .Lfunc_end2-_Z12cahnHilliardPA256_A256_dPA256_A256_KdS5_ddddd
                                        ; -- End function
	.set _Z12cahnHilliardPA256_A256_dPA256_A256_KdS5_ddddd.num_vgpr, 30
	.set _Z12cahnHilliardPA256_A256_dPA256_A256_KdS5_ddddd.num_agpr, 0
	.set _Z12cahnHilliardPA256_A256_dPA256_A256_KdS5_ddddd.numbered_sgpr, 24
	.set _Z12cahnHilliardPA256_A256_dPA256_A256_KdS5_ddddd.num_named_barrier, 0
	.set _Z12cahnHilliardPA256_A256_dPA256_A256_KdS5_ddddd.private_seg_size, 0
	.set _Z12cahnHilliardPA256_A256_dPA256_A256_KdS5_ddddd.uses_vcc, 1
	.set _Z12cahnHilliardPA256_A256_dPA256_A256_KdS5_ddddd.uses_flat_scratch, 0
	.set _Z12cahnHilliardPA256_A256_dPA256_A256_KdS5_ddddd.has_dyn_sized_stack, 0
	.set _Z12cahnHilliardPA256_A256_dPA256_A256_KdS5_ddddd.has_recursion, 0
	.set _Z12cahnHilliardPA256_A256_dPA256_A256_KdS5_ddddd.has_indirect_call, 0
	.section	.AMDGPU.csdata,"",@progbits
; Kernel info:
; codeLenInByte = 1028
; TotalNumSgprs: 28
; NumVgprs: 30
; ScratchSize: 0
; MemoryBound: 0
; FloatMode: 240
; IeeeMode: 1
; LDSByteSize: 0 bytes/workgroup (compile time only)
; SGPRBlocks: 3
; VGPRBlocks: 7
; NumSGPRsForWavesPerEU: 28
; NumVGPRsForWavesPerEU: 30
; Occupancy: 8
; WaveLimiterHint : 0
; COMPUTE_PGM_RSRC2:SCRATCH_EN: 0
; COMPUTE_PGM_RSRC2:USER_SGPR: 6
; COMPUTE_PGM_RSRC2:TRAP_HANDLER: 0
; COMPUTE_PGM_RSRC2:TGID_X_EN: 1
; COMPUTE_PGM_RSRC2:TGID_Y_EN: 1
; COMPUTE_PGM_RSRC2:TGID_Z_EN: 1
; COMPUTE_PGM_RSRC2:TIDIG_COMP_CNT: 2
	.text
	.protected	_Z4SwapPA256_A256_dS1_  ; -- Begin function _Z4SwapPA256_A256_dS1_
	.globl	_Z4SwapPA256_A256_dS1_
	.p2align	8
	.type	_Z4SwapPA256_A256_dS1_,@function
_Z4SwapPA256_A256_dS1_:                 ; @_Z4SwapPA256_A256_dS1_
; %bb.0:
	s_load_dwordx2 s[0:1], s[4:5], 0x1c
	s_waitcnt lgkmcnt(0)
	s_and_b32 s1, s1, 0xffff
	s_lshr_b32 s2, s0, 16
	s_and_b32 s0, s0, 0xffff
	s_mul_i32 s6, s6, s0
	s_mul_i32 s7, s7, s2
	;; [unrolled: 1-line block ×3, first 2 shown]
	v_add_u32_e32 v0, s6, v0
	v_add_u32_e32 v3, s7, v1
	;; [unrolled: 1-line block ×3, first 2 shown]
	v_or3_b32 v2, v3, v0, v1
	s_movk_i32 s0, 0x100
	v_cmp_gt_u32_e32 vcc, s0, v2
	s_and_saveexec_b64 s[0:1], vcc
	s_cbranch_execz .LBB3_2
; %bb.1:
	s_load_dwordx4 s[0:3], s[4:5], 0x0
	v_mov_b32_e32 v2, 0
	v_lshlrev_b64 v[5:6], 19, v[1:2]
	v_mov_b32_e32 v4, v2
	v_lshlrev_b64 v[3:4], 11, v[3:4]
	s_waitcnt lgkmcnt(0)
	v_mov_b32_e32 v1, s3
	v_add_co_u32_e32 v7, vcc, s2, v5
	v_addc_co_u32_e32 v1, vcc, v1, v6, vcc
	v_add_co_u32_e32 v7, vcc, v7, v3
	v_addc_co_u32_e32 v8, vcc, v1, v4, vcc
	v_mov_b32_e32 v1, v2
	v_lshlrev_b64 v[0:1], 3, v[0:1]
	v_mov_b32_e32 v2, s1
	v_add_co_u32_e32 v7, vcc, v7, v0
	v_addc_co_u32_e32 v8, vcc, v8, v1, vcc
	v_add_co_u32_e32 v5, vcc, s0, v5
	v_addc_co_u32_e32 v2, vcc, v2, v6, vcc
	;; [unrolled: 2-line block ×4, first 2 shown]
	global_load_dwordx2 v[2:3], v[7:8], off
	global_load_dwordx2 v[4:5], v[0:1], off
	s_waitcnt vmcnt(1)
	global_store_dwordx2 v[0:1], v[2:3], off
	s_waitcnt vmcnt(1)
	global_store_dwordx2 v[7:8], v[4:5], off
.LBB3_2:
	s_endpgm
	.section	.rodata,"a",@progbits
	.p2align	6, 0x0
	.amdhsa_kernel _Z4SwapPA256_A256_dS1_
		.amdhsa_group_segment_fixed_size 0
		.amdhsa_private_segment_fixed_size 0
		.amdhsa_kernarg_size 272
		.amdhsa_user_sgpr_count 6
		.amdhsa_user_sgpr_private_segment_buffer 1
		.amdhsa_user_sgpr_dispatch_ptr 0
		.amdhsa_user_sgpr_queue_ptr 0
		.amdhsa_user_sgpr_kernarg_segment_ptr 1
		.amdhsa_user_sgpr_dispatch_id 0
		.amdhsa_user_sgpr_flat_scratch_init 0
		.amdhsa_user_sgpr_private_segment_size 0
		.amdhsa_uses_dynamic_stack 0
		.amdhsa_system_sgpr_private_segment_wavefront_offset 0
		.amdhsa_system_sgpr_workgroup_id_x 1
		.amdhsa_system_sgpr_workgroup_id_y 1
		.amdhsa_system_sgpr_workgroup_id_z 1
		.amdhsa_system_sgpr_workgroup_info 0
		.amdhsa_system_vgpr_workitem_id 2
		.amdhsa_next_free_vgpr 9
		.amdhsa_next_free_sgpr 9
		.amdhsa_reserve_vcc 1
		.amdhsa_reserve_flat_scratch 0
		.amdhsa_float_round_mode_32 0
		.amdhsa_float_round_mode_16_64 0
		.amdhsa_float_denorm_mode_32 3
		.amdhsa_float_denorm_mode_16_64 3
		.amdhsa_dx10_clamp 1
		.amdhsa_ieee_mode 1
		.amdhsa_fp16_overflow 0
		.amdhsa_exception_fp_ieee_invalid_op 0
		.amdhsa_exception_fp_denorm_src 0
		.amdhsa_exception_fp_ieee_div_zero 0
		.amdhsa_exception_fp_ieee_overflow 0
		.amdhsa_exception_fp_ieee_underflow 0
		.amdhsa_exception_fp_ieee_inexact 0
		.amdhsa_exception_int_div_zero 0
	.end_amdhsa_kernel
	.text
.Lfunc_end3:
	.size	_Z4SwapPA256_A256_dS1_, .Lfunc_end3-_Z4SwapPA256_A256_dS1_
                                        ; -- End function
	.set _Z4SwapPA256_A256_dS1_.num_vgpr, 9
	.set _Z4SwapPA256_A256_dS1_.num_agpr, 0
	.set _Z4SwapPA256_A256_dS1_.numbered_sgpr, 9
	.set _Z4SwapPA256_A256_dS1_.num_named_barrier, 0
	.set _Z4SwapPA256_A256_dS1_.private_seg_size, 0
	.set _Z4SwapPA256_A256_dS1_.uses_vcc, 1
	.set _Z4SwapPA256_A256_dS1_.uses_flat_scratch, 0
	.set _Z4SwapPA256_A256_dS1_.has_dyn_sized_stack, 0
	.set _Z4SwapPA256_A256_dS1_.has_recursion, 0
	.set _Z4SwapPA256_A256_dS1_.has_indirect_call, 0
	.section	.AMDGPU.csdata,"",@progbits
; Kernel info:
; codeLenInByte = 228
; TotalNumSgprs: 13
; NumVgprs: 9
; ScratchSize: 0
; MemoryBound: 0
; FloatMode: 240
; IeeeMode: 1
; LDSByteSize: 0 bytes/workgroup (compile time only)
; SGPRBlocks: 1
; VGPRBlocks: 2
; NumSGPRsForWavesPerEU: 13
; NumVGPRsForWavesPerEU: 9
; Occupancy: 10
; WaveLimiterHint : 0
; COMPUTE_PGM_RSRC2:SCRATCH_EN: 0
; COMPUTE_PGM_RSRC2:USER_SGPR: 6
; COMPUTE_PGM_RSRC2:TRAP_HANDLER: 0
; COMPUTE_PGM_RSRC2:TGID_X_EN: 1
; COMPUTE_PGM_RSRC2:TGID_Y_EN: 1
; COMPUTE_PGM_RSRC2:TGID_Z_EN: 1
; COMPUTE_PGM_RSRC2:TIDIG_COMP_CNT: 2
	.section	.AMDGPU.gpr_maximums,"",@progbits
	.set amdgpu.max_num_vgpr, 0
	.set amdgpu.max_num_agpr, 0
	.set amdgpu.max_num_sgpr, 0
	.section	.AMDGPU.csdata,"",@progbits
	.type	__hip_cuid_12fb7719546f20c7,@object ; @__hip_cuid_12fb7719546f20c7
	.section	.bss,"aw",@nobits
	.globl	__hip_cuid_12fb7719546f20c7
__hip_cuid_12fb7719546f20c7:
	.byte	0                               ; 0x0
	.size	__hip_cuid_12fb7719546f20c7, 1

	.ident	"AMD clang version 22.0.0git (https://github.com/RadeonOpenCompute/llvm-project roc-7.2.4 26084 f58b06dce1f9c15707c5f808fd002e18c2accf7e)"
	.section	".note.GNU-stack","",@progbits
	.addrsig
	.addrsig_sym __hip_cuid_12fb7719546f20c7
	.amdgpu_metadata
---
amdhsa.kernels:
  - .args:
      - .address_space:  global
        .offset:         0
        .size:           8
        .value_kind:     global_buffer
      - .address_space:  global
        .offset:         8
        .size:           8
        .value_kind:     global_buffer
      - .offset:         16
        .size:           8
        .value_kind:     by_value
      - .offset:         24
        .size:           8
        .value_kind:     by_value
      - .offset:         32
        .size:           8
        .value_kind:     by_value
      - .offset:         40
        .size:           8
        .value_kind:     by_value
      - .offset:         48
        .size:           8
        .value_kind:     by_value
      - .offset:         56
        .size:           8
        .value_kind:     by_value
      - .offset:         64
        .size:           8
        .value_kind:     by_value
      - .offset:         72
        .size:           4
        .value_kind:     hidden_block_count_x
      - .offset:         76
        .size:           4
        .value_kind:     hidden_block_count_y
      - .offset:         80
        .size:           4
        .value_kind:     hidden_block_count_z
      - .offset:         84
        .size:           2
        .value_kind:     hidden_group_size_x
      - .offset:         86
        .size:           2
        .value_kind:     hidden_group_size_y
      - .offset:         88
        .size:           2
        .value_kind:     hidden_group_size_z
      - .offset:         90
        .size:           2
        .value_kind:     hidden_remainder_x
      - .offset:         92
        .size:           2
        .value_kind:     hidden_remainder_y
      - .offset:         94
        .size:           2
        .value_kind:     hidden_remainder_z
      - .offset:         112
        .size:           8
        .value_kind:     hidden_global_offset_x
      - .offset:         120
        .size:           8
        .value_kind:     hidden_global_offset_y
      - .offset:         128
        .size:           8
        .value_kind:     hidden_global_offset_z
      - .offset:         136
        .size:           2
        .value_kind:     hidden_grid_dims
    .group_segment_fixed_size: 0
    .kernarg_segment_align: 8
    .kernarg_segment_size: 328
    .language:       OpenCL C
    .language_version:
      - 2
      - 0
    .max_flat_workgroup_size: 1024
    .name:           _Z17chemicalPotentialPA256_A256_KdPA256_A256_dddddddd
    .private_segment_fixed_size: 0
    .sgpr_count:     28
    .sgpr_spill_count: 0
    .symbol:         _Z17chemicalPotentialPA256_A256_KdPA256_A256_dddddddd.kd
    .uniform_work_group_size: 1
    .uses_dynamic_stack: false
    .vgpr_count:     31
    .vgpr_spill_count: 0
    .wavefront_size: 64
  - .args:
      - .address_space:  global
        .offset:         0
        .size:           8
        .value_kind:     global_buffer
      - .address_space:  global
        .offset:         8
        .size:           8
        .value_kind:     global_buffer
      - .offset:         16
        .size:           8
        .value_kind:     by_value
      - .offset:         24
        .size:           8
        .value_kind:     by_value
      - .offset:         32
        .size:           8
        .value_kind:     by_value
      - .offset:         40
        .size:           8
        .value_kind:     by_value
      - .offset:         48
        .size:           8
        .value_kind:     by_value
      - .offset:         56
        .size:           8
        .value_kind:     by_value
      - .offset:         64
        .size:           8
        .value_kind:     by_value
      - .offset:         72
        .size:           4
        .value_kind:     hidden_block_count_x
      - .offset:         76
        .size:           4
        .value_kind:     hidden_block_count_y
      - .offset:         80
        .size:           4
        .value_kind:     hidden_block_count_z
      - .offset:         84
        .size:           2
        .value_kind:     hidden_group_size_x
      - .offset:         86
        .size:           2
        .value_kind:     hidden_group_size_y
      - .offset:         88
        .size:           2
        .value_kind:     hidden_group_size_z
      - .offset:         90
        .size:           2
        .value_kind:     hidden_remainder_x
      - .offset:         92
        .size:           2
        .value_kind:     hidden_remainder_y
      - .offset:         94
        .size:           2
        .value_kind:     hidden_remainder_z
      - .offset:         112
        .size:           8
        .value_kind:     hidden_global_offset_x
      - .offset:         120
        .size:           8
        .value_kind:     hidden_global_offset_y
      - .offset:         128
        .size:           8
        .value_kind:     hidden_global_offset_z
      - .offset:         136
        .size:           2
        .value_kind:     hidden_grid_dims
    .group_segment_fixed_size: 0
    .kernarg_segment_align: 8
    .kernarg_segment_size: 328
    .language:       OpenCL C
    .language_version:
      - 2
      - 0
    .max_flat_workgroup_size: 1024
    .name:           _Z25localFreeEnergyFunctionalPA256_A256_KdPA256_A256_dddddddd
    .private_segment_fixed_size: 0
    .sgpr_count:     28
    .sgpr_spill_count: 0
    .symbol:         _Z25localFreeEnergyFunctionalPA256_A256_KdPA256_A256_dddddddd.kd
    .uniform_work_group_size: 1
    .uses_dynamic_stack: false
    .vgpr_count:     28
    .vgpr_spill_count: 0
    .wavefront_size: 64
  - .args:
      - .address_space:  global
        .offset:         0
        .size:           8
        .value_kind:     global_buffer
      - .address_space:  global
        .offset:         8
        .size:           8
        .value_kind:     global_buffer
      - .address_space:  global
        .offset:         16
        .size:           8
        .value_kind:     global_buffer
      - .offset:         24
        .size:           8
        .value_kind:     by_value
      - .offset:         32
        .size:           8
        .value_kind:     by_value
      - .offset:         40
        .size:           8
        .value_kind:     by_value
      - .offset:         48
        .size:           8
        .value_kind:     by_value
      - .offset:         56
        .size:           8
        .value_kind:     by_value
      - .offset:         64
        .size:           4
        .value_kind:     hidden_block_count_x
      - .offset:         68
        .size:           4
        .value_kind:     hidden_block_count_y
      - .offset:         72
        .size:           4
        .value_kind:     hidden_block_count_z
      - .offset:         76
        .size:           2
        .value_kind:     hidden_group_size_x
      - .offset:         78
        .size:           2
        .value_kind:     hidden_group_size_y
      - .offset:         80
        .size:           2
        .value_kind:     hidden_group_size_z
      - .offset:         82
        .size:           2
        .value_kind:     hidden_remainder_x
      - .offset:         84
        .size:           2
        .value_kind:     hidden_remainder_y
      - .offset:         86
        .size:           2
        .value_kind:     hidden_remainder_z
      - .offset:         104
        .size:           8
        .value_kind:     hidden_global_offset_x
      - .offset:         112
        .size:           8
        .value_kind:     hidden_global_offset_y
      - .offset:         120
        .size:           8
        .value_kind:     hidden_global_offset_z
      - .offset:         128
        .size:           2
        .value_kind:     hidden_grid_dims
    .group_segment_fixed_size: 0
    .kernarg_segment_align: 8
    .kernarg_segment_size: 320
    .language:       OpenCL C
    .language_version:
      - 2
      - 0
    .max_flat_workgroup_size: 1024
    .name:           _Z12cahnHilliardPA256_A256_dPA256_A256_KdS5_ddddd
    .private_segment_fixed_size: 0
    .sgpr_count:     28
    .sgpr_spill_count: 0
    .symbol:         _Z12cahnHilliardPA256_A256_dPA256_A256_KdS5_ddddd.kd
    .uniform_work_group_size: 1
    .uses_dynamic_stack: false
    .vgpr_count:     30
    .vgpr_spill_count: 0
    .wavefront_size: 64
  - .args:
      - .address_space:  global
        .offset:         0
        .size:           8
        .value_kind:     global_buffer
      - .address_space:  global
        .offset:         8
        .size:           8
        .value_kind:     global_buffer
      - .offset:         16
        .size:           4
        .value_kind:     hidden_block_count_x
      - .offset:         20
        .size:           4
        .value_kind:     hidden_block_count_y
      - .offset:         24
        .size:           4
        .value_kind:     hidden_block_count_z
      - .offset:         28
        .size:           2
        .value_kind:     hidden_group_size_x
      - .offset:         30
        .size:           2
        .value_kind:     hidden_group_size_y
      - .offset:         32
        .size:           2
        .value_kind:     hidden_group_size_z
      - .offset:         34
        .size:           2
        .value_kind:     hidden_remainder_x
      - .offset:         36
        .size:           2
        .value_kind:     hidden_remainder_y
      - .offset:         38
        .size:           2
        .value_kind:     hidden_remainder_z
      - .offset:         56
        .size:           8
        .value_kind:     hidden_global_offset_x
      - .offset:         64
        .size:           8
        .value_kind:     hidden_global_offset_y
      - .offset:         72
        .size:           8
        .value_kind:     hidden_global_offset_z
      - .offset:         80
        .size:           2
        .value_kind:     hidden_grid_dims
    .group_segment_fixed_size: 0
    .kernarg_segment_align: 8
    .kernarg_segment_size: 272
    .language:       OpenCL C
    .language_version:
      - 2
      - 0
    .max_flat_workgroup_size: 1024
    .name:           _Z4SwapPA256_A256_dS1_
    .private_segment_fixed_size: 0
    .sgpr_count:     13
    .sgpr_spill_count: 0
    .symbol:         _Z4SwapPA256_A256_dS1_.kd
    .uniform_work_group_size: 1
    .uses_dynamic_stack: false
    .vgpr_count:     9
    .vgpr_spill_count: 0
    .wavefront_size: 64
amdhsa.target:   amdgcn-amd-amdhsa--gfx906
amdhsa.version:
  - 1
  - 2
...

	.end_amdgpu_metadata
